;; amdgpu-corpus repo=ROCm/rocFFT kind=compiled arch=gfx906 opt=O3
	.text
	.amdgcn_target "amdgcn-amd-amdhsa--gfx906"
	.amdhsa_code_object_version 6
	.protected	fft_rtc_fwd_len243_factors_3_3_3_3_3_wgs_243_tpt_81_half_op_CI_CI_sbcc_twdbase5_3step_dirReg_intrinsicReadWrite ; -- Begin function fft_rtc_fwd_len243_factors_3_3_3_3_3_wgs_243_tpt_81_half_op_CI_CI_sbcc_twdbase5_3step_dirReg_intrinsicReadWrite
	.globl	fft_rtc_fwd_len243_factors_3_3_3_3_3_wgs_243_tpt_81_half_op_CI_CI_sbcc_twdbase5_3step_dirReg_intrinsicReadWrite
	.p2align	8
	.type	fft_rtc_fwd_len243_factors_3_3_3_3_3_wgs_243_tpt_81_half_op_CI_CI_sbcc_twdbase5_3step_dirReg_intrinsicReadWrite,@function
fft_rtc_fwd_len243_factors_3_3_3_3_3_wgs_243_tpt_81_half_op_CI_CI_sbcc_twdbase5_3step_dirReg_intrinsicReadWrite: ; @fft_rtc_fwd_len243_factors_3_3_3_3_3_wgs_243_tpt_81_half_op_CI_CI_sbcc_twdbase5_3step_dirReg_intrinsicReadWrite
; %bb.0:
	s_load_dwordx8 s[8:15], s[4:5], 0x8
	s_load_dwordx2 s[28:29], s[4:5], 0x28
	s_movk_i32 s0, 0x60
	v_cmp_gt_u32_e32 vcc, s0, v0
	s_and_saveexec_b64 s[0:1], vcc
	s_cbranch_execz .LBB0_2
; %bb.1:
	v_lshlrev_b32_e32 v1, 2, v0
	s_waitcnt lgkmcnt(0)
	global_load_dword v2, v1, s[8:9]
	v_add_u32_e32 v1, 0, v1
	s_waitcnt vmcnt(0)
	ds_write_b32 v1, v2 offset:2916
.LBB0_2:
	s_or_b64 exec, exec, s[0:1]
	s_waitcnt lgkmcnt(0)
	s_load_dwordx2 s[2:3], s[12:13], 0x8
	s_mov_b32 s7, 0
	s_mov_b64 s[34:35], 0
	s_waitcnt lgkmcnt(0)
	s_add_u32 s0, s2, -1
	s_addc_u32 s1, s3, -1
	s_add_u32 s8, 0, 0x55500000
	s_addc_u32 s9, 0, 0x155
	s_mul_hi_u32 s17, s8, -3
	s_add_i32 s9, s9, 0x55555400
	s_sub_i32 s17, s17, s8
	s_mul_i32 s20, s9, -3
	s_mul_i32 s16, s8, -3
	s_add_i32 s17, s17, s20
	s_mul_hi_u32 s18, s9, s16
	s_mul_i32 s19, s9, s16
	s_mul_i32 s21, s8, s17
	s_mul_hi_u32 s16, s8, s16
	s_mul_hi_u32 s20, s8, s17
	s_add_u32 s16, s16, s21
	s_addc_u32 s20, 0, s20
	s_add_u32 s16, s16, s19
	s_mul_hi_u32 s21, s9, s17
	s_addc_u32 s16, s20, s18
	s_addc_u32 s18, s21, 0
	s_mul_i32 s17, s9, s17
	s_add_u32 s16, s16, s17
	v_mov_b32_e32 v1, s16
	s_addc_u32 s17, 0, s18
	v_add_co_u32_e32 v1, vcc, s8, v1
	s_cmp_lg_u64 vcc, 0
	s_addc_u32 s8, s9, s17
	v_readfirstlane_b32 s17, v1
	s_mul_i32 s16, s0, s8
	s_mul_hi_u32 s18, s0, s17
	s_mul_hi_u32 s9, s0, s8
	s_add_u32 s16, s18, s16
	s_addc_u32 s9, 0, s9
	s_mul_hi_u32 s19, s1, s17
	s_mul_i32 s17, s1, s17
	s_add_u32 s16, s16, s17
	s_mul_hi_u32 s18, s1, s8
	s_addc_u32 s9, s9, s19
	s_addc_u32 s16, s18, 0
	s_mul_i32 s8, s1, s8
	s_add_u32 s8, s9, s8
	s_addc_u32 s9, 0, s16
	s_add_u32 s16, s8, 1
	s_addc_u32 s17, s9, 0
	s_add_u32 s18, s8, 2
	s_mul_i32 s20, s9, 3
	s_mul_hi_u32 s21, s8, 3
	s_addc_u32 s19, s9, 0
	s_add_i32 s21, s21, s20
	s_mul_i32 s20, s8, 3
	v_mov_b32_e32 v1, s20
	v_sub_co_u32_e32 v1, vcc, s0, v1
	s_cmp_lg_u64 vcc, 0
	s_subb_u32 s0, s1, s21
	v_subrev_co_u32_e32 v2, vcc, 3, v1
	s_cmp_lg_u64 vcc, 0
	s_subb_u32 s1, s0, 0
	v_readfirstlane_b32 s20, v2
	s_cmp_gt_u32 s20, 2
	s_cselect_b32 s20, -1, 0
	s_cmp_eq_u32 s1, 0
	s_cselect_b32 s1, s20, -1
	s_cmp_lg_u32 s1, 0
	s_cselect_b32 s1, s18, s16
	s_cselect_b32 s16, s19, s17
	v_readfirstlane_b32 s17, v1
	s_cmp_gt_u32 s17, 2
	s_cselect_b32 s17, -1, 0
	s_cmp_eq_u32 s0, 0
	s_cselect_b32 s0, s17, -1
	s_cmp_lg_u32 s0, 0
	s_cselect_b32 s1, s1, s8
	s_cselect_b32 s0, s16, s9
	s_add_u32 s30, s1, 1
	s_addc_u32 s31, s0, 0
	v_mov_b32_e32 v1, s30
	v_mov_b32_e32 v2, s31
	v_cmp_lt_u64_e32 vcc, s[6:7], v[1:2]
	s_cbranch_vccnz .LBB0_4
; %bb.3:
	v_cvt_f32_u32_e32 v1, s30
	s_sub_i32 s0, 0, s30
	s_mov_b32 s35, s7
	v_rcp_iflag_f32_e32 v1, v1
	v_mul_f32_e32 v1, 0x4f7ffffe, v1
	v_cvt_u32_f32_e32 v1, v1
	v_readfirstlane_b32 s1, v1
	s_mul_i32 s0, s0, s1
	s_mul_hi_u32 s0, s1, s0
	s_add_i32 s1, s1, s0
	s_mul_hi_u32 s0, s6, s1
	s_mul_i32 s8, s0, s30
	s_sub_i32 s8, s6, s8
	s_add_i32 s1, s0, 1
	s_sub_i32 s9, s8, s30
	s_cmp_ge_u32 s8, s30
	s_cselect_b32 s0, s1, s0
	s_cselect_b32 s8, s9, s8
	s_add_i32 s1, s0, 1
	s_cmp_ge_u32 s8, s30
	s_cselect_b32 s34, s1, s0
.LBB0_4:
	s_mul_i32 s0, s34, s31
	s_mul_hi_u32 s1, s34, s30
	s_load_dwordx4 s[16:19], s[4:5], 0x60
	s_load_dwordx2 s[8:9], s[4:5], 0x0
	s_load_dwordx4 s[24:27], s[14:15], 0x0
	s_load_dwordx4 s[20:23], s[28:29], 0x0
	s_add_i32 s1, s1, s0
	s_mul_i32 s0, s34, s30
	s_waitcnt lgkmcnt(0)
	s_sub_u32 s25, s6, s0
	s_subb_u32 s0, 0, s1
	s_mul_i32 s0, s0, 3
	s_mul_hi_u32 s21, s25, 3
	s_add_i32 s21, s21, s0
	s_mul_i32 s25, s25, 3
	s_mul_i32 s0, s26, s21
	s_mul_hi_u32 s1, s26, s25
	s_add_i32 s0, s1, s0
	s_mul_i32 s1, s27, s25
	s_add_i32 s33, s0, s1
	s_mul_i32 s0, s22, s21
	s_mul_hi_u32 s1, s22, s25
	s_add_i32 s0, s1, s0
	s_mul_i32 s1, s23, s25
	s_add_i32 s46, s0, s1
	v_cmp_lt_u64_e64 s[0:1], s[10:11], 3
	s_mul_i32 s27, s26, s25
	s_mul_i32 s23, s22, s25
	s_and_b64 vcc, exec, s[0:1]
	s_cbranch_vccnz .LBB0_14
; %bb.5:
	s_add_u32 s4, s28, 16
	s_addc_u32 s5, s29, 0
	s_add_u32 s36, s14, 16
	s_addc_u32 s37, s15, 0
	s_add_u32 s12, s12, 16
	v_mov_b32_e32 v1, s10
	s_addc_u32 s13, s13, 0
	s_mov_b64 s[38:39], 2
	s_mov_b32 s40, 0
	v_mov_b32_e32 v2, s11
.LBB0_6:                                ; =>This Inner Loop Header: Depth=1
	s_load_dwordx2 s[42:43], s[12:13], 0x0
	s_waitcnt lgkmcnt(0)
	s_or_b64 s[0:1], s[34:35], s[42:43]
	s_mov_b32 s41, s1
	s_cmp_lg_u64 s[40:41], 0
	s_cbranch_scc0 .LBB0_11
; %bb.7:                                ;   in Loop: Header=BB0_6 Depth=1
	v_cvt_f32_u32_e32 v3, s42
	v_cvt_f32_u32_e32 v4, s43
	s_sub_u32 s0, 0, s42
	s_subb_u32 s1, 0, s43
	v_mac_f32_e32 v3, 0x4f800000, v4
	v_rcp_f32_e32 v3, v3
	v_mul_f32_e32 v3, 0x5f7ffffc, v3
	v_mul_f32_e32 v4, 0x2f800000, v3
	v_trunc_f32_e32 v4, v4
	v_mac_f32_e32 v3, 0xcf800000, v4
	v_cvt_u32_f32_e32 v4, v4
	v_cvt_u32_f32_e32 v3, v3
	v_readfirstlane_b32 s41, v4
	v_readfirstlane_b32 s44, v3
	s_mul_i32 s45, s0, s41
	s_mul_hi_u32 s48, s0, s44
	s_mul_i32 s47, s1, s44
	s_add_i32 s45, s48, s45
	s_mul_i32 s49, s0, s44
	s_add_i32 s45, s45, s47
	s_mul_hi_u32 s47, s44, s45
	s_mul_i32 s48, s44, s45
	s_mul_hi_u32 s44, s44, s49
	s_add_u32 s44, s44, s48
	s_addc_u32 s47, 0, s47
	s_mul_hi_u32 s50, s41, s49
	s_mul_i32 s49, s41, s49
	s_add_u32 s44, s44, s49
	s_mul_hi_u32 s48, s41, s45
	s_addc_u32 s44, s47, s50
	s_addc_u32 s47, s48, 0
	s_mul_i32 s45, s41, s45
	s_add_u32 s44, s44, s45
	s_addc_u32 s45, 0, s47
	v_add_co_u32_e32 v3, vcc, s44, v3
	s_cmp_lg_u64 vcc, 0
	s_addc_u32 s41, s41, s45
	v_readfirstlane_b32 s45, v3
	s_mul_i32 s44, s0, s41
	s_mul_hi_u32 s47, s0, s45
	s_add_i32 s44, s47, s44
	s_mul_i32 s1, s1, s45
	s_add_i32 s44, s44, s1
	s_mul_i32 s0, s0, s45
	s_mul_hi_u32 s47, s41, s0
	s_mul_i32 s48, s41, s0
	s_mul_i32 s50, s45, s44
	s_mul_hi_u32 s0, s45, s0
	s_mul_hi_u32 s49, s45, s44
	s_add_u32 s0, s0, s50
	s_addc_u32 s45, 0, s49
	s_add_u32 s0, s0, s48
	s_mul_hi_u32 s1, s41, s44
	s_addc_u32 s0, s45, s47
	s_addc_u32 s1, s1, 0
	s_mul_i32 s44, s41, s44
	s_add_u32 s0, s0, s44
	s_addc_u32 s1, 0, s1
	v_add_co_u32_e32 v3, vcc, s0, v3
	s_cmp_lg_u64 vcc, 0
	s_addc_u32 s0, s41, s1
	v_readfirstlane_b32 s44, v3
	s_mul_i32 s41, s34, s0
	s_mul_hi_u32 s45, s34, s44
	s_mul_hi_u32 s1, s34, s0
	s_add_u32 s41, s45, s41
	s_addc_u32 s1, 0, s1
	s_mul_hi_u32 s47, s35, s44
	s_mul_i32 s44, s35, s44
	s_add_u32 s41, s41, s44
	s_mul_hi_u32 s45, s35, s0
	s_addc_u32 s1, s1, s47
	s_addc_u32 s41, s45, 0
	s_mul_i32 s0, s35, s0
	s_add_u32 s44, s1, s0
	s_addc_u32 s41, 0, s41
	s_mul_i32 s0, s42, s41
	s_mul_hi_u32 s1, s42, s44
	s_add_i32 s0, s1, s0
	s_mul_i32 s1, s43, s44
	s_add_i32 s45, s0, s1
	s_mul_i32 s1, s42, s44
	v_mov_b32_e32 v3, s1
	s_sub_i32 s0, s35, s45
	v_sub_co_u32_e32 v3, vcc, s34, v3
	s_cmp_lg_u64 vcc, 0
	s_subb_u32 s47, s0, s43
	v_subrev_co_u32_e64 v4, s[0:1], s42, v3
	s_cmp_lg_u64 s[0:1], 0
	s_subb_u32 s0, s47, 0
	s_cmp_ge_u32 s0, s43
	v_readfirstlane_b32 s47, v4
	s_cselect_b32 s1, -1, 0
	s_cmp_ge_u32 s47, s42
	s_cselect_b32 s47, -1, 0
	s_cmp_eq_u32 s0, s43
	s_cselect_b32 s0, s47, s1
	s_add_u32 s1, s44, 1
	s_addc_u32 s47, s41, 0
	s_add_u32 s48, s44, 2
	s_addc_u32 s49, s41, 0
	s_cmp_lg_u32 s0, 0
	s_cselect_b32 s0, s48, s1
	s_cselect_b32 s1, s49, s47
	s_cmp_lg_u64 vcc, 0
	s_subb_u32 s45, s35, s45
	s_cmp_ge_u32 s45, s43
	v_readfirstlane_b32 s48, v3
	s_cselect_b32 s47, -1, 0
	s_cmp_ge_u32 s48, s42
	s_cselect_b32 s48, -1, 0
	s_cmp_eq_u32 s45, s43
	s_cselect_b32 s45, s48, s47
	s_cmp_lg_u32 s45, 0
	s_cselect_b32 s1, s1, s41
	s_cselect_b32 s0, s0, s44
	s_cbranch_execnz .LBB0_9
.LBB0_8:                                ;   in Loop: Header=BB0_6 Depth=1
	v_cvt_f32_u32_e32 v3, s42
	s_sub_i32 s0, 0, s42
	v_rcp_iflag_f32_e32 v3, v3
	v_mul_f32_e32 v3, 0x4f7ffffe, v3
	v_cvt_u32_f32_e32 v3, v3
	v_readfirstlane_b32 s1, v3
	s_mul_i32 s0, s0, s1
	s_mul_hi_u32 s0, s1, s0
	s_add_i32 s1, s1, s0
	s_mul_hi_u32 s0, s34, s1
	s_mul_i32 s41, s0, s42
	s_sub_i32 s41, s34, s41
	s_add_i32 s1, s0, 1
	s_sub_i32 s44, s41, s42
	s_cmp_ge_u32 s41, s42
	s_cselect_b32 s0, s1, s0
	s_cselect_b32 s41, s44, s41
	s_add_i32 s1, s0, 1
	s_cmp_ge_u32 s41, s42
	s_cselect_b32 s0, s1, s0
	s_mov_b32 s1, s40
.LBB0_9:                                ;   in Loop: Header=BB0_6 Depth=1
	s_mul_i32 s31, s42, s31
	s_mul_hi_u32 s41, s42, s30
	s_add_i32 s31, s41, s31
	s_mul_i32 s41, s43, s30
	s_add_i32 s31, s31, s41
	s_mul_i32 s41, s0, s43
	s_mul_hi_u32 s43, s0, s42
	s_load_dwordx2 s[44:45], s[36:37], 0x0
	s_add_i32 s41, s43, s41
	s_mul_i32 s43, s1, s42
	s_mul_i32 s30, s42, s30
	s_add_i32 s41, s41, s43
	s_mul_i32 s42, s0, s42
	s_sub_u32 s42, s34, s42
	s_subb_u32 s41, s35, s41
	s_waitcnt lgkmcnt(0)
	s_mul_i32 s34, s44, s41
	s_mul_hi_u32 s35, s44, s42
	s_add_i32 s43, s35, s34
	s_load_dwordx2 s[34:35], s[4:5], 0x0
	s_mul_i32 s45, s45, s42
	s_add_i32 s43, s43, s45
	s_mul_i32 s44, s44, s42
	s_add_u32 s27, s44, s27
	s_addc_u32 s33, s43, s33
	s_waitcnt lgkmcnt(0)
	s_mul_i32 s41, s34, s41
	s_mul_hi_u32 s43, s34, s42
	s_add_i32 s41, s43, s41
	s_mul_i32 s35, s35, s42
	s_add_i32 s41, s41, s35
	s_mul_i32 s34, s34, s42
	s_add_u32 s23, s34, s23
	s_addc_u32 s46, s41, s46
	s_add_u32 s38, s38, 1
	s_addc_u32 s39, s39, 0
	;; [unrolled: 2-line block ×4, first 2 shown]
	v_cmp_ge_u64_e32 vcc, s[38:39], v[1:2]
	s_add_u32 s12, s12, 8
	s_addc_u32 s13, s13, 0
	s_cbranch_vccnz .LBB0_12
; %bb.10:                               ;   in Loop: Header=BB0_6 Depth=1
	s_mov_b64 s[34:35], s[0:1]
	s_branch .LBB0_6
.LBB0_11:                               ;   in Loop: Header=BB0_6 Depth=1
                                        ; implicit-def: $sgpr0_sgpr1
	s_branch .LBB0_8
.LBB0_12:
	v_mov_b32_e32 v1, s30
	v_mov_b32_e32 v2, s31
	v_cmp_lt_u64_e32 vcc, s[6:7], v[1:2]
	s_mov_b64 s[34:35], 0
	s_cbranch_vccnz .LBB0_14
; %bb.13:
	v_cvt_f32_u32_e32 v1, s30
	s_sub_i32 s0, 0, s30
	v_rcp_iflag_f32_e32 v1, v1
	v_mul_f32_e32 v1, 0x4f7ffffe, v1
	v_cvt_u32_f32_e32 v1, v1
	v_readfirstlane_b32 s1, v1
	s_mul_i32 s0, s0, s1
	s_mul_hi_u32 s0, s1, s0
	s_add_i32 s1, s1, s0
	s_mul_hi_u32 s0, s6, s1
	s_mul_i32 s4, s0, s30
	s_sub_i32 s4, s6, s4
	s_add_i32 s1, s0, 1
	s_sub_i32 s5, s4, s30
	s_cmp_ge_u32 s4, s30
	s_cselect_b32 s0, s1, s0
	s_cselect_b32 s4, s5, s4
	s_add_i32 s1, s0, 1
	s_cmp_ge_u32 s4, s30
	s_cselect_b32 s34, s1, s0
.LBB0_14:
	s_lshl_b64 s[0:1], s[10:11], 3
	s_add_u32 s4, s14, s0
	s_addc_u32 s5, s15, s1
	s_load_dword s4, s[4:5], 0x0
	s_mov_b32 s6, 0x55555556
	v_mul_hi_u32 v6, v0, s6
	v_mov_b32_e32 v2, s21
	v_mov_b32_e32 v4, s3
	s_waitcnt lgkmcnt(0)
	s_mul_i32 s4, s4, s34
	s_add_i32 s4, s4, s27
	s_add_u32 s0, s28, s0
	s_addc_u32 s1, s29, s1
	s_load_dword s0, s[0:1], 0x0
	v_mul_u32_u24_e32 v1, 3, v6
	v_sub_u32_e32 v7, v0, v1
	v_add_co_u32_e32 v1, vcc, s25, v7
	s_waitcnt lgkmcnt(0)
	s_mul_i32 s5, s0, s34
	s_add_i32 s5, s5, s23
	s_add_u32 s0, s25, 3
	v_addc_co_u32_e32 v2, vcc, 0, v2, vcc
	s_addc_u32 s1, s21, 0
	v_mov_b32_e32 v3, s2
	v_mul_lo_u32 v5, s26, v7
	v_mul_lo_u32 v8, s24, v6
	v_cmp_le_u64_e32 vcc, s[0:1], v[3:4]
	v_add_u32_e32 v3, 0x51, v6
	v_add_u32_e32 v4, 0xa2, v6
	v_mul_lo_u32 v3, s24, v3
	v_mul_lo_u32 v4, s24, v4
	v_cmp_gt_u64_e64 s[0:1], s[2:3], v[1:2]
	v_add_lshl_u32 v2, v5, v8, 2
	s_or_b64 vcc, vcc, s[0:1]
	s_lshl_b32 s4, s4, 2
	v_cndmask_b32_e32 v2, -1, v2, vcc
	s_mov_b32 s3, 0x20000
	s_mov_b32 s2, -2
	s_mov_b32 s0, s16
	s_mov_b32 s1, s17
	v_add_lshl_u32 v3, v5, v3, 2
	v_add_lshl_u32 v4, v5, v4, 2
	v_cndmask_b32_e32 v3, -1, v3, vcc
	v_cndmask_b32_e32 v4, -1, v4, vcc
	buffer_load_dword v5, v2, s[0:3], s4 offen
	buffer_load_dword v8, v3, s[0:3], s4 offen
	;; [unrolled: 1-line block ×3, first 2 shown]
	v_mul_hi_u32 v2, v6, s6
	v_mul_u32_u24_e32 v3, 36, v6
	v_lshlrev_b32_e32 v10, 2, v7
	s_movk_i32 s4, 0x3aee
	v_add3_u32 v4, 0, v3, v10
	v_mul_u32_u24_e32 v2, 3, v2
	s_mov_b32 s0, 0xffff
	v_sub_u32_e32 v11, v6, v2
	v_lshlrev_b32_e32 v2, 3, v11
	s_mov_b32 s1, 0x1c71c71d
	s_mov_b32 s6, 0xbaee
	;; [unrolled: 1-line block ×3, first 2 shown]
	s_movk_i32 s10, 0xf3
	v_mul_lo_u32 v7, s22, v7
	s_lshl_b32 s5, s5, 2
	s_waitcnt vmcnt(1)
	v_pk_add_f16 v3, v5, v8
	s_waitcnt vmcnt(0)
	v_pk_add_f16 v12, v8, v9
	v_pk_add_f16 v8, v8, v9 neg_lo:[0,1] neg_hi:[0,1]
	v_pk_fma_f16 v5, v12, -0.5, v5 op_sel_hi:[1,0,1]
	v_pk_mul_f16 v8, v8, s4 op_sel_hi:[1,0]
	v_pk_add_f16 v3, v3, v9
	v_pk_add_f16 v9, v5, v8 op_sel:[0,1] op_sel_hi:[1,0]
	v_pk_add_f16 v5, v5, v8 op_sel:[0,1] op_sel_hi:[1,0] neg_lo:[0,1] neg_hi:[0,1]
	v_bfi_b32 v8, s0, v9, v5
	v_bfi_b32 v5, s0, v5, v9
	ds_write2_b32 v4, v3, v8 offset1:3
	ds_write_b32 v4, v5 offset:24
	s_waitcnt lgkmcnt(0)
	s_barrier
	global_load_dwordx2 v[2:3], v2, s[8:9]
	v_mul_hi_u32 v5, v6, s1
	v_mul_hi_u32 v8, v0, s1
	s_movk_i32 s0, 0xffe8
	v_mad_i32_i24 v9, v6, s0, v4
	v_mul_u32_u24_e32 v4, 9, v5
	v_sub_u32_e32 v12, v6, v4
	v_mad_u32_u24 v4, v8, 9, v11
	v_mul_u32_u24_e32 v4, 12, v4
	v_add3_u32 v11, 0, v4, v10
	ds_read_b32 v13, v9 offset:1944
	ds_read2_b32 v[4:5], v9 offset1:243
	v_lshlrev_b32_e32 v8, 3, v12
	s_waitcnt vmcnt(0) lgkmcnt(0)
	s_barrier
	v_lshrrev_b32_e32 v14, 16, v13
	v_lshrrev_b32_e32 v15, 16, v4
	s_mov_b32 s0, 0x97b425f
	s_mov_b32 s1, 0x3291620
	v_lshrrev_b32_e32 v16, 16, v2
	v_mul_f16_sdwa v17, v2, v5 dst_sel:DWORD dst_unused:UNUSED_PAD src0_sel:DWORD src1_sel:WORD_1
	v_mul_f16_sdwa v18, v3, v14 dst_sel:DWORD dst_unused:UNUSED_PAD src0_sel:WORD_1 src1_sel:DWORD
	v_fma_f16 v18, v3, v13, -v18
	v_mul_f16_sdwa v13, v3, v13 dst_sel:DWORD dst_unused:UNUSED_PAD src0_sel:WORD_1 src1_sel:DWORD
	v_fma_f16 v17, v16, v5, v17
	v_mul_f16_sdwa v16, v16, v5 dst_sel:DWORD dst_unused:UNUSED_PAD src0_sel:DWORD src1_sel:WORD_1
	v_fma_f16 v3, v3, v14, v13
	v_fma_f16 v2, v2, v5, -v16
	v_add_f16_e32 v13, v17, v15
	v_sub_f16_e32 v5, v17, v3
	v_add_f16_e32 v14, v17, v3
	v_add_f16_e32 v3, v13, v3
	;; [unrolled: 1-line block ×4, first 2 shown]
	v_fma_f16 v14, v14, -0.5, v15
	v_sub_f16_e32 v2, v2, v18
	v_fma_f16 v4, v13, -0.5, v4
	v_add_f16_e32 v15, v16, v18
	v_fma_f16 v13, v2, s6, v14
	v_fma_f16 v2, v2, s4, v14
	;; [unrolled: 1-line block ×4, first 2 shown]
	v_pack_b32_f16 v3, v15, v3
	v_pack_b32_f16 v5, v14, v13
	;; [unrolled: 1-line block ×3, first 2 shown]
	ds_write2_b32 v11, v3, v5 offset1:9
	ds_write_b32 v11, v2 offset:72
	s_waitcnt lgkmcnt(0)
	s_barrier
	global_load_dwordx2 v[2:3], v8, s[8:9] offset:24
	v_mul_hi_u32 v4, v6, s0
	v_mul_hi_u32 v5, v0, s0
	s_movk_i32 s0, 0x51
	v_mul_u32_u24_e32 v4, 27, v4
	v_sub_u32_e32 v8, v6, v4
	v_mad_u32_u24 v4, v5, 27, v12
	v_mul_u32_u24_e32 v4, 12, v4
	v_add3_u32 v12, 0, v4, v10
	ds_read_b32 v13, v9 offset:1944
	ds_read2_b32 v[4:5], v9 offset1:243
	v_lshlrev_b32_e32 v11, 3, v8
	s_waitcnt vmcnt(0) lgkmcnt(0)
	s_barrier
	v_lshrrev_b32_e32 v14, 16, v13
	v_lshrrev_b32_e32 v15, 16, v4
	v_lshrrev_b32_e32 v16, 16, v2
	v_mul_f16_sdwa v17, v2, v5 dst_sel:DWORD dst_unused:UNUSED_PAD src0_sel:DWORD src1_sel:WORD_1
	v_mul_f16_sdwa v18, v3, v14 dst_sel:DWORD dst_unused:UNUSED_PAD src0_sel:WORD_1 src1_sel:DWORD
	v_fma_f16 v18, v3, v13, -v18
	v_mul_f16_sdwa v13, v3, v13 dst_sel:DWORD dst_unused:UNUSED_PAD src0_sel:WORD_1 src1_sel:DWORD
	v_fma_f16 v17, v16, v5, v17
	v_mul_f16_sdwa v16, v16, v5 dst_sel:DWORD dst_unused:UNUSED_PAD src0_sel:DWORD src1_sel:WORD_1
	v_fma_f16 v3, v3, v14, v13
	v_fma_f16 v2, v2, v5, -v16
	v_add_f16_e32 v13, v17, v15
	v_sub_f16_e32 v5, v17, v3
	v_add_f16_e32 v14, v17, v3
	v_add_f16_e32 v3, v13, v3
	;; [unrolled: 1-line block ×4, first 2 shown]
	v_fma_f16 v14, v14, -0.5, v15
	v_sub_f16_e32 v2, v2, v18
	v_fma_f16 v4, v13, -0.5, v4
	v_add_f16_e32 v15, v16, v18
	v_fma_f16 v13, v2, s6, v14
	v_fma_f16 v2, v2, s4, v14
	;; [unrolled: 1-line block ×4, first 2 shown]
	v_pack_b32_f16 v3, v15, v3
	v_pack_b32_f16 v5, v14, v13
	;; [unrolled: 1-line block ×3, first 2 shown]
	ds_write2_b32 v12, v3, v5 offset1:27
	ds_write_b32 v12, v2 offset:216
	s_waitcnt lgkmcnt(0)
	s_barrier
	global_load_dwordx2 v[2:3], v11, s[8:9] offset:96
	v_mul_hi_u32 v5, v6, s1
	v_mul_hi_u32 v4, v0, s1
	;; [unrolled: 1-line block ×3, first 2 shown]
	v_mul_lo_u32 v11, v1, s0
	v_mul_u32_u24_e32 v5, 0x51, v5
	v_sub_u32_e32 v5, v6, v5
	v_mad_u32_u24 v4, v4, s0, v8
	v_lshlrev_b32_e32 v6, 3, v5
	v_mul_lo_u32 v8, v5, v1
	v_mad_u32_u24 v5, v0, s10, v5
	v_mul_u32_u24_e32 v0, 12, v4
	v_add3_u32 v10, 0, v0, v10
	ds_read_b32 v13, v9 offset:1944
	ds_read2_b32 v[0:1], v9 offset1:243
	s_waitcnt vmcnt(0) lgkmcnt(0)
	s_barrier
	v_lshrrev_b32_e32 v14, 16, v13
	v_lshrrev_b32_e32 v15, 16, v0
	v_add_u32_e32 v12, 0x51, v5
	v_mul_lo_u32 v4, s20, v5
	s_add_i32 s0, 0, 0xb64
	s_mov_b32 s1, s19
	v_add_lshl_u32 v4, v7, v4, 2
	v_cndmask_b32_e32 v4, -1, v4, vcc
	v_lshrrev_b32_e32 v16, 16, v2
	v_mul_f16_sdwa v17, v2, v1 dst_sel:DWORD dst_unused:UNUSED_PAD src0_sel:DWORD src1_sel:WORD_1
	v_mul_f16_sdwa v18, v3, v14 dst_sel:DWORD dst_unused:UNUSED_PAD src0_sel:WORD_1 src1_sel:DWORD
	v_mul_f16_sdwa v19, v3, v13 dst_sel:DWORD dst_unused:UNUSED_PAD src0_sel:WORD_1 src1_sel:DWORD
	v_fma_f16 v17, v16, v1, v17
	v_mul_f16_sdwa v16, v16, v1 dst_sel:DWORD dst_unused:UNUSED_PAD src0_sel:DWORD src1_sel:WORD_1
	v_fma_f16 v13, v3, v13, -v18
	v_fma_f16 v3, v3, v14, v19
	v_fma_f16 v1, v2, v1, -v16
	v_add_f16_e32 v14, v17, v15
	v_add_f16_e32 v16, v17, v3
	;; [unrolled: 1-line block ×3, first 2 shown]
	v_sub_f16_e32 v2, v17, v3
	v_add_f16_e32 v17, v1, v0
	v_add_f16_e32 v3, v14, v3
	v_fma_f16 v14, v16, -0.5, v15
	v_sub_f16_e32 v1, v1, v13
	v_fma_f16 v0, v18, -0.5, v0
	v_add_f16_e32 v13, v17, v13
	v_fma_f16 v15, v1, s6, v14
	v_fma_f16 v1, v1, s4, v14
	;; [unrolled: 1-line block ×4, first 2 shown]
	v_pack_b32_f16 v2, v13, v3
	v_pack_b32_f16 v3, v14, v15
	;; [unrolled: 1-line block ×3, first 2 shown]
	ds_write2_b32 v10, v2, v3 offset1:81
	ds_write_b32 v10, v0 offset:648
	s_waitcnt lgkmcnt(0)
	s_barrier
	global_load_dwordx2 v[0:1], v6, s[8:9] offset:312
	v_add_u32_e32 v2, 0xa2, v5
	v_mul_lo_u32 v3, s20, v12
	v_mul_lo_u32 v2, s20, v2
	v_and_b32_e32 v5, 31, v8
	v_lshrrev_b32_e32 v6, 3, v8
	v_lshrrev_b32_e32 v10, 8, v8
	v_add_u32_e32 v8, v8, v11
	v_and_b32_e32 v12, 31, v8
	v_lshrrev_b32_e32 v13, 3, v8
	v_lshrrev_b32_e32 v14, 8, v8
	v_add_u32_e32 v8, v8, v11
	v_lshl_add_u32 v11, v12, 2, 0
	v_and_b32_e32 v12, 0x7c, v13
	v_and_b32_e32 v13, 0x7c, v14
	;; [unrolled: 1-line block ×3, first 2 shown]
	v_lshrrev_b32_e32 v15, 3, v8
	v_lshrrev_b32_e32 v8, 8, v8
	v_and_b32_e32 v6, 0x7c, v6
	v_and_b32_e32 v10, 0x7c, v10
	v_add_lshl_u32 v3, v7, v3, 2
	v_add_lshl_u32 v2, v7, v2, 2
	v_lshl_add_u32 v7, v14, 2, 0
	v_and_b32_e32 v14, 0x7c, v15
	v_and_b32_e32 v8, 0x7c, v8
	v_lshl_add_u32 v5, v5, 2, 0
	v_add_u32_e32 v6, s0, v6
	v_add_u32_e32 v10, s0, v10
	;; [unrolled: 1-line block ×6, first 2 shown]
	v_cndmask_b32_e32 v15, -1, v3, vcc
	v_cndmask_b32_e32 v16, -1, v2, vcc
	ds_read2_b32 v[2:3], v9 offset1:243
	ds_read_b32 v9, v9 offset:1944
	ds_read_b32 v5, v5 offset:2916
	ds_read_b32 v6, v6 offset:128
	ds_read_b32 v10, v10 offset:256
	ds_read_b32 v11, v11 offset:2916
	ds_read_b32 v12, v12 offset:128
	ds_read_b32 v13, v13 offset:256
	ds_read_b32 v7, v7 offset:2916
	ds_read_b32 v14, v14 offset:128
	ds_read_b32 v8, v8 offset:256
	s_waitcnt lgkmcnt(8)
	v_lshrrev_b32_e32 v18, 16, v5
	s_waitcnt lgkmcnt(7)
	v_mul_f16_sdwa v19, v5, v6 dst_sel:DWORD dst_unused:UNUSED_PAD src0_sel:DWORD src1_sel:WORD_1
	v_fma_f16 v19, v18, v6, v19
	v_mul_f16_sdwa v18, v18, v6 dst_sel:DWORD dst_unused:UNUSED_PAD src0_sel:DWORD src1_sel:WORD_1
	v_fma_f16 v5, v5, v6, -v18
	s_waitcnt lgkmcnt(5)
	v_lshrrev_b32_e32 v6, 16, v11
	s_waitcnt lgkmcnt(4)
	v_mul_f16_sdwa v18, v11, v12 dst_sel:DWORD dst_unused:UNUSED_PAD src0_sel:DWORD src1_sel:WORD_1
	v_fma_f16 v18, v6, v12, v18
	v_mul_f16_sdwa v6, v6, v12 dst_sel:DWORD dst_unused:UNUSED_PAD src0_sel:DWORD src1_sel:WORD_1
	v_fma_f16 v6, v11, v12, -v6
	;; [unrolled: 7-line block ×3, first 2 shown]
	v_mul_f16_sdwa v14, v19, v10 dst_sel:DWORD dst_unused:UNUSED_PAD src0_sel:DWORD src1_sel:WORD_1
	v_fma_f16 v14, v10, v5, -v14
	v_mul_f16_sdwa v5, v5, v10 dst_sel:DWORD dst_unused:UNUSED_PAD src0_sel:DWORD src1_sel:WORD_1
	v_fma_f16 v5, v10, v19, v5
	s_waitcnt lgkmcnt(0)
	v_mul_f16_sdwa v19, v12, v8 dst_sel:DWORD dst_unused:UNUSED_PAD src0_sel:DWORD src1_sel:WORD_1
	v_mul_f16_sdwa v10, v18, v13 dst_sel:DWORD dst_unused:UNUSED_PAD src0_sel:DWORD src1_sel:WORD_1
	v_fma_f16 v19, v8, v7, -v19
	v_mul_f16_sdwa v7, v7, v8 dst_sel:DWORD dst_unused:UNUSED_PAD src0_sel:DWORD src1_sel:WORD_1
	v_lshrrev_b32_e32 v17, 16, v9
	v_fma_f16 v10, v13, v6, -v10
	v_mul_f16_sdwa v6, v6, v13 dst_sel:DWORD dst_unused:UNUSED_PAD src0_sel:DWORD src1_sel:WORD_1
	v_fma_f16 v7, v8, v12, v7
	v_fma_f16 v6, v13, v18, v6
	v_lshrrev_b32_e32 v11, 16, v2
	s_mov_b32 s0, s18
	s_waitcnt vmcnt(0)
	v_lshrrev_b32_e32 v8, 16, v0
	v_mul_f16_sdwa v12, v0, v3 dst_sel:DWORD dst_unused:UNUSED_PAD src0_sel:DWORD src1_sel:WORD_1
	v_mul_f16_sdwa v13, v1, v17 dst_sel:DWORD dst_unused:UNUSED_PAD src0_sel:WORD_1 src1_sel:DWORD
	v_mul_f16_sdwa v18, v1, v9 dst_sel:DWORD dst_unused:UNUSED_PAD src0_sel:WORD_1 src1_sel:DWORD
	v_fma_f16 v12, v8, v3, v12
	v_mul_f16_sdwa v8, v8, v3 dst_sel:DWORD dst_unused:UNUSED_PAD src0_sel:DWORD src1_sel:WORD_1
	v_fma_f16 v9, v1, v9, -v13
	v_fma_f16 v1, v1, v17, v18
	v_fma_f16 v0, v0, v3, -v8
	v_sub_f16_e32 v3, v12, v1
	v_add_f16_e32 v8, v12, v11
	v_add_f16_e32 v12, v12, v1
	;; [unrolled: 1-line block ×5, first 2 shown]
	v_fma_f16 v8, v12, -0.5, v11
	v_sub_f16_e32 v0, v0, v9
	v_add_f16_e32 v9, v13, v9
	v_fma_f16 v2, v17, -0.5, v2
	v_fma_f16 v11, v0, s6, v8
	v_fma_f16 v0, v0, s4, v8
	v_mul_f16_e32 v8, v1, v5
	v_fma_f16 v12, v3, s4, v2
	v_mul_f16_e32 v5, v9, v5
	v_fma_f16 v2, v3, s6, v2
	v_fma_f16 v3, v9, v14, -v8
	v_mul_f16_e32 v8, v11, v6
	v_mul_f16_e32 v9, v0, v7
	v_fma_f16 v1, v1, v14, v5
	v_mul_f16_e32 v6, v12, v6
	v_fma_f16 v5, v12, v10, -v8
	v_fma_f16 v8, v2, v19, -v9
	v_mul_f16_e32 v2, v2, v7
	v_fma_f16 v6, v11, v10, v6
	v_lshlrev_b32_e32 v1, 16, v1
	v_fma_f16 v0, v0, v19, v2
	v_or_b32_sdwa v1, v1, v3 dst_sel:DWORD dst_unused:UNUSED_PAD src0_sel:DWORD src1_sel:WORD_0
	v_lshlrev_b32_e32 v2, 16, v6
	v_lshlrev_b32_e32 v0, 16, v0
	buffer_store_dword v1, v4, s[0:3], s5 offen
	v_or_b32_sdwa v1, v2, v5 dst_sel:DWORD dst_unused:UNUSED_PAD src0_sel:DWORD src1_sel:WORD_0
	v_or_b32_sdwa v0, v0, v8 dst_sel:DWORD dst_unused:UNUSED_PAD src0_sel:DWORD src1_sel:WORD_0
	buffer_store_dword v1, v15, s[0:3], s5 offen
	buffer_store_dword v0, v16, s[0:3], s5 offen
	s_endpgm
	.section	.rodata,"a",@progbits
	.p2align	6, 0x0
	.amdhsa_kernel fft_rtc_fwd_len243_factors_3_3_3_3_3_wgs_243_tpt_81_half_op_CI_CI_sbcc_twdbase5_3step_dirReg_intrinsicReadWrite
		.amdhsa_group_segment_fixed_size 0
		.amdhsa_private_segment_fixed_size 0
		.amdhsa_kernarg_size 112
		.amdhsa_user_sgpr_count 6
		.amdhsa_user_sgpr_private_segment_buffer 1
		.amdhsa_user_sgpr_dispatch_ptr 0
		.amdhsa_user_sgpr_queue_ptr 0
		.amdhsa_user_sgpr_kernarg_segment_ptr 1
		.amdhsa_user_sgpr_dispatch_id 0
		.amdhsa_user_sgpr_flat_scratch_init 0
		.amdhsa_user_sgpr_private_segment_size 0
		.amdhsa_uses_dynamic_stack 0
		.amdhsa_system_sgpr_private_segment_wavefront_offset 0
		.amdhsa_system_sgpr_workgroup_id_x 1
		.amdhsa_system_sgpr_workgroup_id_y 0
		.amdhsa_system_sgpr_workgroup_id_z 0
		.amdhsa_system_sgpr_workgroup_info 0
		.amdhsa_system_vgpr_workitem_id 0
		.amdhsa_next_free_vgpr 20
		.amdhsa_next_free_sgpr 51
		.amdhsa_reserve_vcc 1
		.amdhsa_reserve_flat_scratch 0
		.amdhsa_float_round_mode_32 0
		.amdhsa_float_round_mode_16_64 0
		.amdhsa_float_denorm_mode_32 3
		.amdhsa_float_denorm_mode_16_64 3
		.amdhsa_dx10_clamp 1
		.amdhsa_ieee_mode 1
		.amdhsa_fp16_overflow 0
		.amdhsa_exception_fp_ieee_invalid_op 0
		.amdhsa_exception_fp_denorm_src 0
		.amdhsa_exception_fp_ieee_div_zero 0
		.amdhsa_exception_fp_ieee_overflow 0
		.amdhsa_exception_fp_ieee_underflow 0
		.amdhsa_exception_fp_ieee_inexact 0
		.amdhsa_exception_int_div_zero 0
	.end_amdhsa_kernel
	.text
.Lfunc_end0:
	.size	fft_rtc_fwd_len243_factors_3_3_3_3_3_wgs_243_tpt_81_half_op_CI_CI_sbcc_twdbase5_3step_dirReg_intrinsicReadWrite, .Lfunc_end0-fft_rtc_fwd_len243_factors_3_3_3_3_3_wgs_243_tpt_81_half_op_CI_CI_sbcc_twdbase5_3step_dirReg_intrinsicReadWrite
                                        ; -- End function
	.section	.AMDGPU.csdata,"",@progbits
; Kernel info:
; codeLenInByte = 3832
; NumSgprs: 55
; NumVgprs: 20
; ScratchSize: 0
; MemoryBound: 0
; FloatMode: 240
; IeeeMode: 1
; LDSByteSize: 0 bytes/workgroup (compile time only)
; SGPRBlocks: 6
; VGPRBlocks: 4
; NumSGPRsForWavesPerEU: 55
; NumVGPRsForWavesPerEU: 20
; Occupancy: 10
; WaveLimiterHint : 0
; COMPUTE_PGM_RSRC2:SCRATCH_EN: 0
; COMPUTE_PGM_RSRC2:USER_SGPR: 6
; COMPUTE_PGM_RSRC2:TRAP_HANDLER: 0
; COMPUTE_PGM_RSRC2:TGID_X_EN: 1
; COMPUTE_PGM_RSRC2:TGID_Y_EN: 0
; COMPUTE_PGM_RSRC2:TGID_Z_EN: 0
; COMPUTE_PGM_RSRC2:TIDIG_COMP_CNT: 0
	.type	__hip_cuid_3f4513f7ae186c6f,@object ; @__hip_cuid_3f4513f7ae186c6f
	.section	.bss,"aw",@nobits
	.globl	__hip_cuid_3f4513f7ae186c6f
__hip_cuid_3f4513f7ae186c6f:
	.byte	0                               ; 0x0
	.size	__hip_cuid_3f4513f7ae186c6f, 1

	.ident	"AMD clang version 19.0.0git (https://github.com/RadeonOpenCompute/llvm-project roc-6.4.0 25133 c7fe45cf4b819c5991fe208aaa96edf142730f1d)"
	.section	".note.GNU-stack","",@progbits
	.addrsig
	.addrsig_sym __hip_cuid_3f4513f7ae186c6f
	.amdgpu_metadata
---
amdhsa.kernels:
  - .args:
      - .actual_access:  read_only
        .address_space:  global
        .offset:         0
        .size:           8
        .value_kind:     global_buffer
      - .address_space:  global
        .offset:         8
        .size:           8
        .value_kind:     global_buffer
      - .offset:         16
        .size:           8
        .value_kind:     by_value
      - .actual_access:  read_only
        .address_space:  global
        .offset:         24
        .size:           8
        .value_kind:     global_buffer
      - .actual_access:  read_only
        .address_space:  global
        .offset:         32
        .size:           8
        .value_kind:     global_buffer
      - .actual_access:  read_only
        .address_space:  global
        .offset:         40
        .size:           8
        .value_kind:     global_buffer
      - .offset:         48
        .size:           8
        .value_kind:     by_value
      - .actual_access:  read_only
        .address_space:  global
        .offset:         56
        .size:           8
        .value_kind:     global_buffer
      - .actual_access:  read_only
        .address_space:  global
        .offset:         64
        .size:           8
        .value_kind:     global_buffer
      - .offset:         72
        .size:           4
        .value_kind:     by_value
      - .actual_access:  read_only
        .address_space:  global
        .offset:         80
        .size:           8
        .value_kind:     global_buffer
      - .actual_access:  read_only
        .address_space:  global
        .offset:         88
        .size:           8
        .value_kind:     global_buffer
      - .address_space:  global
        .offset:         96
        .size:           8
        .value_kind:     global_buffer
      - .address_space:  global
        .offset:         104
        .size:           8
        .value_kind:     global_buffer
    .group_segment_fixed_size: 0
    .kernarg_segment_align: 8
    .kernarg_segment_size: 112
    .language:       OpenCL C
    .language_version:
      - 2
      - 0
    .max_flat_workgroup_size: 243
    .name:           fft_rtc_fwd_len243_factors_3_3_3_3_3_wgs_243_tpt_81_half_op_CI_CI_sbcc_twdbase5_3step_dirReg_intrinsicReadWrite
    .private_segment_fixed_size: 0
    .sgpr_count:     55
    .sgpr_spill_count: 0
    .symbol:         fft_rtc_fwd_len243_factors_3_3_3_3_3_wgs_243_tpt_81_half_op_CI_CI_sbcc_twdbase5_3step_dirReg_intrinsicReadWrite.kd
    .uniform_work_group_size: 1
    .uses_dynamic_stack: false
    .vgpr_count:     20
    .vgpr_spill_count: 0
    .wavefront_size: 64
amdhsa.target:   amdgcn-amd-amdhsa--gfx906
amdhsa.version:
  - 1
  - 2
...

	.end_amdgpu_metadata
